;; amdgpu-corpus repo=ROCm/rocFFT kind=compiled arch=gfx1030 opt=O3
	.text
	.amdgcn_target "amdgcn-amd-amdhsa--gfx1030"
	.amdhsa_code_object_version 6
	.protected	fft_rtc_fwd_len910_factors_13_2_7_5_wgs_182_tpt_91_sp_op_CI_CI_unitstride_sbrr_C2R_dirReg ; -- Begin function fft_rtc_fwd_len910_factors_13_2_7_5_wgs_182_tpt_91_sp_op_CI_CI_unitstride_sbrr_C2R_dirReg
	.globl	fft_rtc_fwd_len910_factors_13_2_7_5_wgs_182_tpt_91_sp_op_CI_CI_unitstride_sbrr_C2R_dirReg
	.p2align	8
	.type	fft_rtc_fwd_len910_factors_13_2_7_5_wgs_182_tpt_91_sp_op_CI_CI_unitstride_sbrr_C2R_dirReg,@function
fft_rtc_fwd_len910_factors_13_2_7_5_wgs_182_tpt_91_sp_op_CI_CI_unitstride_sbrr_C2R_dirReg: ; @fft_rtc_fwd_len910_factors_13_2_7_5_wgs_182_tpt_91_sp_op_CI_CI_unitstride_sbrr_C2R_dirReg
; %bb.0:
	s_clause 0x2
	s_load_dwordx4 s[12:15], s[4:5], 0x0
	s_load_dwordx4 s[8:11], s[4:5], 0x58
	;; [unrolled: 1-line block ×3, first 2 shown]
	v_mul_u32_u24_e32 v1, 0x2d1, v0
	v_mov_b32_e32 v3, 0
	v_lshrrev_b32_e32 v7, 16, v1
	v_mov_b32_e32 v1, 0
	v_mov_b32_e32 v6, v3
	v_mov_b32_e32 v2, 0
	v_lshl_add_u32 v5, s6, 1, v7
	s_waitcnt lgkmcnt(0)
	v_cmp_lt_u64_e64 s0, s[14:15], 2
	s_and_b32 vcc_lo, exec_lo, s0
	s_cbranch_vccnz .LBB0_8
; %bb.1:
	s_load_dwordx2 s[0:1], s[4:5], 0x10
	v_mov_b32_e32 v1, 0
	v_mov_b32_e32 v2, 0
	s_add_u32 s2, s18, 8
	s_addc_u32 s3, s19, 0
	s_add_u32 s6, s16, 8
	s_addc_u32 s7, s17, 0
	v_mov_b32_e32 v31, v2
	v_mov_b32_e32 v30, v1
	s_mov_b64 s[22:23], 1
	s_waitcnt lgkmcnt(0)
	s_add_u32 s20, s0, 8
	s_addc_u32 s21, s1, 0
.LBB0_2:                                ; =>This Inner Loop Header: Depth=1
	s_load_dwordx2 s[24:25], s[20:21], 0x0
                                        ; implicit-def: $vgpr32_vgpr33
	s_mov_b32 s0, exec_lo
	s_waitcnt lgkmcnt(0)
	v_or_b32_e32 v4, s25, v6
	v_cmpx_ne_u64_e32 0, v[3:4]
	s_xor_b32 s1, exec_lo, s0
	s_cbranch_execz .LBB0_4
; %bb.3:                                ;   in Loop: Header=BB0_2 Depth=1
	v_cvt_f32_u32_e32 v4, s24
	v_cvt_f32_u32_e32 v8, s25
	s_sub_u32 s0, 0, s24
	s_subb_u32 s26, 0, s25
	v_fmac_f32_e32 v4, 0x4f800000, v8
	v_rcp_f32_e32 v4, v4
	v_mul_f32_e32 v4, 0x5f7ffffc, v4
	v_mul_f32_e32 v8, 0x2f800000, v4
	v_trunc_f32_e32 v8, v8
	v_fmac_f32_e32 v4, 0xcf800000, v8
	v_cvt_u32_f32_e32 v8, v8
	v_cvt_u32_f32_e32 v4, v4
	v_mul_lo_u32 v9, s0, v8
	v_mul_hi_u32 v10, s0, v4
	v_mul_lo_u32 v11, s26, v4
	v_add_nc_u32_e32 v9, v10, v9
	v_mul_lo_u32 v10, s0, v4
	v_add_nc_u32_e32 v9, v9, v11
	v_mul_hi_u32 v11, v4, v10
	v_mul_lo_u32 v12, v4, v9
	v_mul_hi_u32 v13, v4, v9
	v_mul_hi_u32 v14, v8, v10
	v_mul_lo_u32 v10, v8, v10
	v_mul_hi_u32 v15, v8, v9
	v_mul_lo_u32 v9, v8, v9
	v_add_co_u32 v11, vcc_lo, v11, v12
	v_add_co_ci_u32_e32 v12, vcc_lo, 0, v13, vcc_lo
	v_add_co_u32 v10, vcc_lo, v11, v10
	v_add_co_ci_u32_e32 v10, vcc_lo, v12, v14, vcc_lo
	v_add_co_ci_u32_e32 v11, vcc_lo, 0, v15, vcc_lo
	v_add_co_u32 v9, vcc_lo, v10, v9
	v_add_co_ci_u32_e32 v10, vcc_lo, 0, v11, vcc_lo
	v_add_co_u32 v4, vcc_lo, v4, v9
	v_add_co_ci_u32_e32 v8, vcc_lo, v8, v10, vcc_lo
	v_mul_hi_u32 v9, s0, v4
	v_mul_lo_u32 v11, s26, v4
	v_mul_lo_u32 v10, s0, v8
	v_add_nc_u32_e32 v9, v9, v10
	v_mul_lo_u32 v10, s0, v4
	v_add_nc_u32_e32 v9, v9, v11
	v_mul_hi_u32 v11, v4, v10
	v_mul_lo_u32 v12, v4, v9
	v_mul_hi_u32 v13, v4, v9
	v_mul_hi_u32 v14, v8, v10
	v_mul_lo_u32 v10, v8, v10
	v_mul_hi_u32 v15, v8, v9
	v_mul_lo_u32 v9, v8, v9
	v_add_co_u32 v11, vcc_lo, v11, v12
	v_add_co_ci_u32_e32 v12, vcc_lo, 0, v13, vcc_lo
	v_add_co_u32 v10, vcc_lo, v11, v10
	v_add_co_ci_u32_e32 v10, vcc_lo, v12, v14, vcc_lo
	v_add_co_ci_u32_e32 v11, vcc_lo, 0, v15, vcc_lo
	v_add_co_u32 v9, vcc_lo, v10, v9
	v_add_co_ci_u32_e32 v10, vcc_lo, 0, v11, vcc_lo
	v_add_co_u32 v4, vcc_lo, v4, v9
	v_add_co_ci_u32_e32 v12, vcc_lo, v8, v10, vcc_lo
	v_mul_hi_u32 v14, v5, v4
	v_mad_u64_u32 v[10:11], null, v6, v4, 0
	v_mad_u64_u32 v[8:9], null, v5, v12, 0
	v_mad_u64_u32 v[12:13], null, v6, v12, 0
	v_add_co_u32 v4, vcc_lo, v14, v8
	v_add_co_ci_u32_e32 v8, vcc_lo, 0, v9, vcc_lo
	v_add_co_u32 v4, vcc_lo, v4, v10
	v_add_co_ci_u32_e32 v4, vcc_lo, v8, v11, vcc_lo
	v_add_co_ci_u32_e32 v8, vcc_lo, 0, v13, vcc_lo
	v_add_co_u32 v4, vcc_lo, v4, v12
	v_add_co_ci_u32_e32 v10, vcc_lo, 0, v8, vcc_lo
	v_mul_lo_u32 v11, s25, v4
	v_mad_u64_u32 v[8:9], null, s24, v4, 0
	v_mul_lo_u32 v12, s24, v10
	v_sub_co_u32 v8, vcc_lo, v5, v8
	v_add3_u32 v9, v9, v12, v11
	v_sub_nc_u32_e32 v11, v6, v9
	v_subrev_co_ci_u32_e64 v11, s0, s25, v11, vcc_lo
	v_add_co_u32 v12, s0, v4, 2
	v_add_co_ci_u32_e64 v13, s0, 0, v10, s0
	v_sub_co_u32 v14, s0, v8, s24
	v_sub_co_ci_u32_e32 v9, vcc_lo, v6, v9, vcc_lo
	v_subrev_co_ci_u32_e64 v11, s0, 0, v11, s0
	v_cmp_le_u32_e32 vcc_lo, s24, v14
	v_cmp_eq_u32_e64 s0, s25, v9
	v_cndmask_b32_e64 v14, 0, -1, vcc_lo
	v_cmp_le_u32_e32 vcc_lo, s25, v11
	v_cndmask_b32_e64 v15, 0, -1, vcc_lo
	v_cmp_le_u32_e32 vcc_lo, s24, v8
	;; [unrolled: 2-line block ×3, first 2 shown]
	v_cndmask_b32_e64 v16, 0, -1, vcc_lo
	v_cmp_eq_u32_e32 vcc_lo, s25, v11
	v_cndmask_b32_e64 v8, v16, v8, s0
	v_cndmask_b32_e32 v11, v15, v14, vcc_lo
	v_add_co_u32 v14, vcc_lo, v4, 1
	v_add_co_ci_u32_e32 v15, vcc_lo, 0, v10, vcc_lo
	v_cmp_ne_u32_e32 vcc_lo, 0, v11
	v_cndmask_b32_e32 v9, v15, v13, vcc_lo
	v_cndmask_b32_e32 v11, v14, v12, vcc_lo
	v_cmp_ne_u32_e32 vcc_lo, 0, v8
	v_cndmask_b32_e32 v33, v10, v9, vcc_lo
	v_cndmask_b32_e32 v32, v4, v11, vcc_lo
.LBB0_4:                                ;   in Loop: Header=BB0_2 Depth=1
	s_andn2_saveexec_b32 s0, s1
	s_cbranch_execz .LBB0_6
; %bb.5:                                ;   in Loop: Header=BB0_2 Depth=1
	v_cvt_f32_u32_e32 v4, s24
	s_sub_i32 s1, 0, s24
	v_mov_b32_e32 v33, v3
	v_rcp_iflag_f32_e32 v4, v4
	v_mul_f32_e32 v4, 0x4f7ffffe, v4
	v_cvt_u32_f32_e32 v4, v4
	v_mul_lo_u32 v8, s1, v4
	v_mul_hi_u32 v8, v4, v8
	v_add_nc_u32_e32 v4, v4, v8
	v_mul_hi_u32 v4, v5, v4
	v_mul_lo_u32 v8, v4, s24
	v_add_nc_u32_e32 v9, 1, v4
	v_sub_nc_u32_e32 v8, v5, v8
	v_subrev_nc_u32_e32 v10, s24, v8
	v_cmp_le_u32_e32 vcc_lo, s24, v8
	v_cndmask_b32_e32 v8, v8, v10, vcc_lo
	v_cndmask_b32_e32 v4, v4, v9, vcc_lo
	v_cmp_le_u32_e32 vcc_lo, s24, v8
	v_add_nc_u32_e32 v9, 1, v4
	v_cndmask_b32_e32 v32, v4, v9, vcc_lo
.LBB0_6:                                ;   in Loop: Header=BB0_2 Depth=1
	s_or_b32 exec_lo, exec_lo, s0
	v_mul_lo_u32 v4, v33, s24
	v_mul_lo_u32 v10, v32, s25
	s_load_dwordx2 s[0:1], s[6:7], 0x0
	v_mad_u64_u32 v[8:9], null, v32, s24, 0
	s_load_dwordx2 s[24:25], s[2:3], 0x0
	s_add_u32 s22, s22, 1
	s_addc_u32 s23, s23, 0
	s_add_u32 s2, s2, 8
	s_addc_u32 s3, s3, 0
	s_add_u32 s6, s6, 8
	v_add3_u32 v4, v9, v10, v4
	v_sub_co_u32 v5, vcc_lo, v5, v8
	s_addc_u32 s7, s7, 0
	s_add_u32 s20, s20, 8
	v_sub_co_ci_u32_e32 v4, vcc_lo, v6, v4, vcc_lo
	s_addc_u32 s21, s21, 0
	s_waitcnt lgkmcnt(0)
	v_mul_lo_u32 v6, s0, v4
	v_mul_lo_u32 v8, s1, v5
	v_mad_u64_u32 v[1:2], null, s0, v5, v[1:2]
	v_mul_lo_u32 v4, s24, v4
	v_mul_lo_u32 v9, s25, v5
	v_mad_u64_u32 v[30:31], null, s24, v5, v[30:31]
	v_cmp_ge_u64_e64 s0, s[22:23], s[14:15]
	v_add3_u32 v2, v8, v2, v6
	v_add3_u32 v31, v9, v31, v4
	s_and_b32 vcc_lo, exec_lo, s0
	s_cbranch_vccnz .LBB0_9
; %bb.7:                                ;   in Loop: Header=BB0_2 Depth=1
	v_mov_b32_e32 v5, v32
	v_mov_b32_e32 v6, v33
	s_branch .LBB0_2
.LBB0_8:
	v_mov_b32_e32 v31, v2
	v_mov_b32_e32 v33, v6
	;; [unrolled: 1-line block ×4, first 2 shown]
.LBB0_9:
	s_load_dwordx2 s[0:1], s[4:5], 0x28
	v_and_b32_e32 v4, 1, v7
	v_mul_hi_u32 v3, 0x2d02d03, v0
	s_lshl_b64 s[4:5], s[14:15], 3
                                        ; implicit-def: $vgpr34
	s_add_u32 s2, s18, s4
	s_addc_u32 s3, s19, s5
	s_waitcnt lgkmcnt(0)
	v_cmp_gt_u64_e32 vcc_lo, s[0:1], v[32:33]
	v_cmp_le_u64_e64 s1, s[0:1], v[32:33]
	v_cmp_eq_u32_e64 s0, 1, v4
	s_and_saveexec_b32 s6, s1
	s_xor_b32 s1, exec_lo, s6
; %bb.10:
	v_mul_u32_u24_e32 v1, 0x5b, v3
                                        ; implicit-def: $vgpr3
	v_sub_nc_u32_e32 v34, v0, v1
                                        ; implicit-def: $vgpr0
                                        ; implicit-def: $vgpr1_vgpr2
; %bb.11:
	s_or_saveexec_b32 s1, s1
	s_load_dwordx2 s[2:3], s[2:3], 0x0
	v_cndmask_b32_e64 v4, 0, 0x38f, s0
	v_lshlrev_b32_e32 v40, 3, v4
	s_xor_b32 exec_lo, exec_lo, s1
	s_cbranch_execz .LBB0_15
; %bb.12:
	s_add_u32 s4, s16, s4
	s_addc_u32 s5, s17, s5
	v_mul_u32_u24_e32 v3, 0x5b, v3
	s_load_dwordx2 s[4:5], s[4:5], 0x0
	v_lshlrev_b64 v[1:2], 3, v[1:2]
	v_sub_nc_u32_e32 v34, v0, v3
	v_lshlrev_b32_e32 v25, 3, v34
	s_waitcnt lgkmcnt(0)
	v_mul_lo_u32 v7, s5, v32
	v_mul_lo_u32 v8, s4, v33
	v_mad_u64_u32 v[5:6], null, s4, v32, 0
	s_mov_b32 s4, exec_lo
	v_add3_u32 v6, v6, v8, v7
	v_lshlrev_b64 v[5:6], 3, v[5:6]
	v_add_co_u32 v0, s0, s8, v5
	v_add_co_ci_u32_e64 v3, s0, s9, v6, s0
	v_add_co_u32 v0, s0, v0, v1
	v_add_co_ci_u32_e64 v1, s0, v3, v2, s0
	v_add_co_u32 v2, s0, v0, v25
	v_add_co_ci_u32_e64 v3, s0, 0, v1, s0
	v_add_co_u32 v5, s0, 0x800, v2
	v_add_co_ci_u32_e64 v6, s0, 0, v3, s0
	v_add_co_u32 v7, s0, 0x1000, v2
	v_add_co_ci_u32_e64 v8, s0, 0, v3, s0
	v_add_co_u32 v9, s0, 0x1800, v2
	v_add_co_ci_u32_e64 v10, s0, 0, v3, s0
	s_clause 0x9
	global_load_dwordx2 v[11:12], v[2:3], off
	global_load_dwordx2 v[13:14], v[2:3], off offset:728
	global_load_dwordx2 v[15:16], v[2:3], off offset:1456
	;; [unrolled: 1-line block ×9, first 2 shown]
	v_add3_u32 v2, 0, v40, v25
	v_add_nc_u32_e32 v3, 0x400, v2
	v_add_nc_u32_e32 v25, 0x800, v2
	v_add_nc_u32_e32 v26, 0x1000, v2
	v_add_nc_u32_e32 v27, 0x1400, v2
	s_waitcnt vmcnt(8)
	ds_write2_b64 v2, v[11:12], v[13:14] offset1:91
	s_waitcnt vmcnt(6)
	ds_write2_b64 v3, v[15:16], v[17:18] offset0:54 offset1:145
	s_waitcnt vmcnt(4)
	ds_write2_b64 v25, v[19:20], v[5:6] offset0:108 offset1:199
	;; [unrolled: 2-line block ×4, first 2 shown]
	v_cmpx_eq_u32_e32 0x5a, v34
	s_cbranch_execz .LBB0_14
; %bb.13:
	v_add_co_u32 v0, s0, 0x1800, v0
	v_add_co_ci_u32_e64 v1, s0, 0, v1, s0
	v_mov_b32_e32 v34, 0x5a
	global_load_dwordx2 v[0:1], v[0:1], off offset:1136
	s_waitcnt vmcnt(0)
	ds_write_b64 v2, v[0:1] offset:6560
.LBB0_14:
	s_or_b32 exec_lo, exec_lo, s4
.LBB0_15:
	s_or_b32 exec_lo, exec_lo, s1
	v_lshl_add_u32 v37, v4, 3, 0
	v_lshlrev_b32_e32 v0, 3, v34
	s_waitcnt lgkmcnt(0)
	s_barrier
	buffer_gl0_inv
	s_add_u32 s1, s12, 0x1c08
	v_add_nc_u32_e32 v39, v37, v0
	v_sub_nc_u32_e32 v5, v37, v0
	s_addc_u32 s4, s13, 0
	s_mov_b32 s5, exec_lo
	ds_read_b32 v6, v39
	ds_read_b32 v7, v5 offset:7280
                                        ; implicit-def: $vgpr2_vgpr3
	s_waitcnt lgkmcnt(0)
	v_add_f32_e32 v0, v7, v6
	v_sub_f32_e32 v1, v6, v7
	v_cmpx_ne_u32_e32 0, v34
	s_xor_b32 s5, exec_lo, s5
	s_cbranch_execz .LBB0_17
; %bb.16:
	v_mov_b32_e32 v35, 0
	v_add_f32_e32 v8, v7, v6
	v_sub_f32_e32 v9, v6, v7
	v_lshlrev_b64 v[0:1], 3, v[34:35]
	v_add_co_u32 v0, s0, s1, v0
	v_add_co_ci_u32_e64 v1, s0, s4, v1, s0
	global_load_dwordx2 v[2:3], v[0:1], off
	ds_read_b32 v0, v5 offset:7284
	ds_read_b32 v1, v39 offset:4
	s_waitcnt lgkmcnt(0)
	v_add_f32_e32 v10, v0, v1
	v_sub_f32_e32 v0, v1, v0
	s_waitcnt vmcnt(0)
	v_fma_f32 v6, -v9, v3, v8
	v_fma_f32 v7, v10, v3, -v0
	v_fma_f32 v11, v9, v3, v8
	v_fma_f32 v1, v10, v3, v0
	v_fmac_f32_e32 v6, v2, v10
	v_fmac_f32_e32 v7, v9, v2
	v_fma_f32 v0, -v2, v10, v11
	v_fmac_f32_e32 v1, v9, v2
	v_mov_b32_e32 v2, v34
	v_mov_b32_e32 v3, v35
	ds_write_b64 v5, v[6:7] offset:7280
.LBB0_17:
	s_andn2_saveexec_b32 s0, s5
	s_cbranch_execz .LBB0_19
; %bb.18:
	ds_read_b64 v[2:3], v37 offset:3640
	s_waitcnt lgkmcnt(0)
	v_add_f32_e32 v6, v2, v2
	v_mul_f32_e32 v7, -2.0, v3
	v_mov_b32_e32 v2, 0
	v_mov_b32_e32 v3, 0
	ds_write_b64 v37, v[6:7] offset:3640
.LBB0_19:
	s_or_b32 exec_lo, exec_lo, s0
	v_lshlrev_b64 v[2:3], 3, v[2:3]
	v_lshl_add_u32 v45, v34, 3, 0
	v_lshl_add_u32 v38, v4, 3, v45
	v_add_co_u32 v2, s0, s1, v2
	v_add_co_ci_u32_e64 v3, s0, s4, v3, s0
	v_add_nc_u32_e32 v41, 0x400, v38
	v_add_nc_u32_e32 v43, 0x1000, v38
	s_clause 0x1
	global_load_dwordx2 v[6:7], v[2:3], off offset:728
	global_load_dwordx2 v[8:9], v[2:3], off offset:1456
	v_add_co_u32 v2, s0, 0x800, v2
	v_add_co_ci_u32_e64 v3, s0, 0, v3, s0
	v_add_nc_u32_e32 v44, 0x800, v38
	s_clause 0x1
	global_load_dwordx2 v[10:11], v[2:3], off offset:136
	global_load_dwordx2 v[2:3], v[2:3], off offset:864
	ds_write_b64 v39, v[0:1]
	ds_read_b64 v[0:1], v39 offset:728
	ds_read_b64 v[12:13], v5 offset:6552
	v_add_nc_u32_e32 v42, 0xc00, v38
	s_mov_b32 s1, exec_lo
	s_waitcnt lgkmcnt(0)
	v_add_f32_e32 v14, v0, v12
	v_add_f32_e32 v15, v13, v1
	v_sub_f32_e32 v16, v0, v12
	v_sub_f32_e32 v0, v1, v13
	s_waitcnt vmcnt(3)
	v_fma_f32 v17, v16, v7, v14
	v_fma_f32 v1, v15, v7, v0
	v_fma_f32 v12, -v16, v7, v14
	v_fma_f32 v13, v15, v7, -v0
	v_fma_f32 v0, -v6, v15, v17
	v_fmac_f32_e32 v1, v16, v6
	v_fmac_f32_e32 v12, v6, v15
	v_fmac_f32_e32 v13, v16, v6
	ds_write_b64 v39, v[0:1] offset:728
	ds_write_b64 v5, v[12:13] offset:6552
	ds_read_b64 v[0:1], v39 offset:1456
	ds_read_b64 v[6:7], v5 offset:5824
	s_waitcnt lgkmcnt(0)
	v_add_f32_e32 v12, v0, v6
	v_add_f32_e32 v13, v7, v1
	v_sub_f32_e32 v14, v0, v6
	v_sub_f32_e32 v0, v1, v7
	s_waitcnt vmcnt(2)
	v_fma_f32 v15, v14, v9, v12
	v_fma_f32 v1, v13, v9, v0
	v_fma_f32 v6, -v14, v9, v12
	v_fma_f32 v7, v13, v9, -v0
	v_fma_f32 v0, -v8, v13, v15
	v_fmac_f32_e32 v1, v14, v8
	v_fmac_f32_e32 v6, v8, v13
	v_fmac_f32_e32 v7, v14, v8
	ds_write_b64 v39, v[0:1] offset:1456
	ds_write_b64 v5, v[6:7] offset:5824
	ds_read_b64 v[0:1], v39 offset:2184
	ds_read_b64 v[6:7], v5 offset:5096
	;; [unrolled: 18-line block ×3, first 2 shown]
	s_waitcnt lgkmcnt(0)
	v_add_f32_e32 v8, v0, v6
	v_add_f32_e32 v9, v7, v1
	v_sub_f32_e32 v10, v0, v6
	v_sub_f32_e32 v0, v1, v7
	s_waitcnt vmcnt(0)
	v_fma_f32 v11, v10, v3, v8
	v_fma_f32 v1, v9, v3, v0
	v_fma_f32 v6, -v10, v3, v8
	v_fma_f32 v7, v9, v3, -v0
	v_fma_f32 v0, -v2, v9, v11
	v_fmac_f32_e32 v1, v10, v2
	v_fmac_f32_e32 v6, v2, v9
	;; [unrolled: 1-line block ×3, first 2 shown]
	v_add_nc_u32_e32 v2, 0x1800, v38
	ds_write_b64 v39, v[0:1] offset:2912
	ds_write_b64 v5, v[6:7] offset:4368
	s_waitcnt lgkmcnt(0)
	s_barrier
	buffer_gl0_inv
	s_barrier
	buffer_gl0_inv
	ds_read2_b64 v[18:21], v38 offset0:70 offset1:140
	ds_read2_b64 v[6:9], v2 offset0:2 offset1:72
	;; [unrolled: 1-line block ×6, first 2 shown]
	ds_read_b64 v[35:36], v39
	s_waitcnt lgkmcnt(0)
	s_barrier
	buffer_gl0_inv
	v_sub_f32_e32 v90, v18, v8
	v_sub_f32_e32 v105, v19, v9
	v_add_f32_e32 v71, v8, v18
	v_add_f32_e32 v72, v9, v19
	v_sub_f32_e32 v89, v20, v6
	v_sub_f32_e32 v102, v21, v7
	v_mul_f32_e32 v55, 0xbeedf032, v105
	v_mul_f32_e32 v57, 0xbeedf032, v90
	;; [unrolled: 1-line block ×6, first 2 shown]
	v_add_f32_e32 v68, v6, v20
	v_add_f32_e32 v70, v7, v21
	v_sub_f32_e32 v87, v14, v12
	v_sub_f32_e32 v101, v15, v13
	v_mul_f32_e32 v54, 0xbf52af12, v102
	v_mul_f32_e32 v56, 0xbf52af12, v89
	;; [unrolled: 1-line block ×6, first 2 shown]
	v_fmamk_f32 v0, v71, 0x3f62ad3f, v55
	v_fma_f32 v1, 0x3f62ad3f, v72, -v57
	v_fmamk_f32 v112, v71, 0x3f116cb1, v76
	v_fma_f32 v114, 0x3f116cb1, v72, -v81
	;; [unrolled: 2-line block ×3, first 2 shown]
	v_add_f32_e32 v64, v12, v14
	v_add_f32_e32 v65, v13, v15
	v_sub_f32_e32 v84, v16, v10
	v_sub_f32_e32 v100, v17, v11
	v_mul_f32_e32 v52, 0xbf7e222b, v101
	v_mul_f32_e32 v53, 0xbf7e222b, v87
	v_mul_f32_e32 v74, 0xbe750f2a, v101
	v_mul_f32_e32 v77, 0xbe750f2a, v87
	v_mul_f32_e32 v91, 0x3f6f5d39, v101
	v_mul_f32_e32 v97, 0x3f6f5d39, v87
	v_fmamk_f32 v2, v68, 0x3f116cb1, v54
	v_fma_f32 v3, 0x3f116cb1, v70, -v56
	v_fmamk_f32 v113, v68, 0xbeb58ec6, v73
	v_fma_f32 v115, 0xbeb58ec6, v70, -v80
	v_fmamk_f32 v125, v68, 0xbf788fa5, v92
	v_fma_f32 v131, 0xbf788fa5, v70, -v98
	v_add_f32_e32 v0, v35, v0
	v_add_f32_e32 v1, v36, v1
	v_add_f32_e32 v112, v35, v112
	v_add_f32_e32 v114, v36, v114
	v_add_f32_e32 v124, v35, v124
	v_add_f32_e32 v130, v36, v130
	v_add_f32_e32 v61, v10, v16
	v_add_f32_e32 v62, v11, v17
	v_sub_f32_e32 v103, v27, v25
	v_sub_f32_e32 v85, v26, v24
	v_mul_f32_e32 v49, 0xbf6f5d39, v100
	v_mul_f32_e32 v51, 0xbf6f5d39, v84
	v_mul_f32_e32 v75, 0x3f29c268, v100
	v_mul_f32_e32 v78, 0x3f29c268, v84
	v_mul_f32_e32 v88, 0x3eedf032, v100
	v_mul_f32_e32 v96, 0x3eedf032, v84
	v_fmamk_f32 v4, v64, 0x3df6dbef, v52
	v_fma_f32 v5, 0x3df6dbef, v65, -v53
	v_fmamk_f32 v116, v64, 0xbf788fa5, v74
	v_fma_f32 v117, 0xbf788fa5, v65, -v77
	v_fmamk_f32 v126, v64, 0xbeb58ec6, v91
	v_fma_f32 v132, 0xbeb58ec6, v65, -v97
	v_add_f32_e32 v0, v2, v0
	v_add_f32_e32 v1, v3, v1
	v_add_f32_e32 v2, v113, v112
	v_add_f32_e32 v3, v115, v114
	v_add_f32_e32 v112, v125, v124
	v_add_f32_e32 v113, v131, v130
	;; [unrolled: 22-line block ×3, first 2 shown]
	v_add_f32_e32 v67, v22, v28
	v_add_f32_e32 v69, v23, v29
	v_mul_f32_e32 v46, 0xbe750f2a, v104
	v_mul_f32_e32 v47, 0xbe750f2a, v86
	;; [unrolled: 1-line block ×6, first 2 shown]
	v_fmamk_f32 v108, v63, 0xbf3f9e67, v48
	v_fma_f32 v109, 0xbf3f9e67, v66, -v50
	v_fmamk_f32 v120, v63, 0x3df6dbef, v59
	v_fma_f32 v121, 0x3df6dbef, v66, -v79
	;; [unrolled: 2-line block ×3, first 2 shown]
	v_add_f32_e32 v0, v106, v0
	v_add_f32_e32 v1, v107, v1
	;; [unrolled: 1-line block ×6, first 2 shown]
	v_fmamk_f32 v110, v67, 0xbf788fa5, v46
	v_fma_f32 v111, 0xbf788fa5, v69, -v47
	v_fmamk_f32 v122, v67, 0x3f62ad3f, v58
	v_fma_f32 v123, 0x3f62ad3f, v69, -v60
	;; [unrolled: 2-line block ×3, first 2 shown]
	v_add_f32_e32 v0, v108, v0
	v_add_f32_e32 v1, v109, v1
	;; [unrolled: 1-line block ×12, first 2 shown]
	v_cmpx_gt_u32_e32 0x46, v34
	s_cbranch_execz .LBB0_21
; %bb.20:
	v_mul_f32_e32 v108, 0xbeb58ec6, v72
	v_mul_f32_e32 v110, 0xbf6f5d39, v105
	;; [unrolled: 1-line block ×5, first 2 shown]
	v_fmamk_f32 v106, v90, 0x3f6f5d39, v108
	v_fmamk_f32 v107, v71, 0xbeb58ec6, v110
	v_mul_f32_e32 v113, 0x3eedf032, v101
	v_fmamk_f32 v115, v89, 0xbf29c268, v109
	v_fmamk_f32 v116, v68, 0xbf3f9e67, v111
	v_add_f32_e32 v106, v36, v106
	v_add_f32_e32 v107, v35, v107
	v_mul_f32_e32 v122, 0xbf788fa5, v72
	v_mul_f32_e32 v114, 0x3df6dbef, v62
	;; [unrolled: 1-line block ×3, first 2 shown]
	v_fmamk_f32 v118, v87, 0xbeedf032, v112
	v_add_f32_e32 v106, v115, v106
	v_fmamk_f32 v115, v64, 0x3f62ad3f, v113
	v_add_f32_e32 v107, v116, v107
	v_fmamk_f32 v124, v90, 0x3e750f2a, v122
	v_mul_f32_e32 v125, 0x3f62ad3f, v70
	v_fmamk_f32 v116, v84, 0x3f7e222b, v114
	v_fmamk_f32 v119, v61, 0x3df6dbef, v117
	v_add_f32_e32 v106, v118, v106
	v_add_f32_e32 v107, v115, v107
	v_mul_f32_e32 v115, 0xbf788fa5, v66
	v_mul_f32_e32 v118, 0x3e750f2a, v103
	v_add_f32_e32 v124, v36, v124
	v_fmamk_f32 v126, v89, 0xbeedf032, v125
	v_mul_f32_e32 v127, 0xbf3f9e67, v65
	v_add_f32_e32 v106, v116, v106
	v_add_f32_e32 v107, v119, v107
	v_fmamk_f32 v116, v85, 0xbe750f2a, v115
	v_fmamk_f32 v119, v63, 0xbf788fa5, v118
	v_mul_f32_e32 v120, 0x3f116cb1, v69
	v_mul_f32_e32 v121, 0x3f52af12, v104
	v_add_f32_e32 v124, v126, v124
	v_fmamk_f32 v126, v87, 0x3f29c268, v127
	v_mul_f32_e32 v130, 0x3f116cb1, v62
	v_add_f32_e32 v106, v116, v106
	v_add_f32_e32 v116, v119, v107
	v_fmamk_f32 v107, v86, 0xbf52af12, v120
	v_fmamk_f32 v119, v67, 0x3f116cb1, v121
	v_mul_f32_e32 v123, 0xbe750f2a, v105
	v_add_f32_e32 v124, v126, v124
	v_fmamk_f32 v126, v84, 0xbf52af12, v130
	v_mul_f32_e32 v132, 0xbeb58ec6, v66
	v_add_f32_e32 v107, v107, v106
	v_add_f32_e32 v106, v119, v116
	v_fmamk_f32 v116, v71, 0xbf788fa5, v123
	v_mul_f32_e32 v119, 0x3eedf032, v102
	v_add_f32_e32 v124, v126, v124
	v_mul_f32_e32 v126, 0xbf3f9e67, v72
	v_fmamk_f32 v134, v85, 0x3f6f5d39, v132
	v_add_f32_e32 v116, v35, v116
	v_fmamk_f32 v128, v68, 0x3f62ad3f, v119
	v_mul_f32_e32 v129, 0xbf29c268, v101
	v_fmamk_f32 v136, v90, 0x3f29c268, v126
	v_fmac_f32_e32 v126, 0xbf29c268, v90
	v_add_f32_e32 v124, v134, v124
	v_mul_f32_e32 v134, 0x3df6dbef, v70
	v_mul_f32_e32 v105, 0xbf29c268, v105
	v_add_f32_e32 v116, v128, v116
	v_fmamk_f32 v128, v64, 0xbf3f9e67, v129
	v_mul_f32_e32 v131, 0x3f52af12, v100
	v_add_f32_e32 v126, v36, v126
	v_fmamk_f32 v137, v89, 0xbf7e222b, v134
	v_fmac_f32_e32 v134, 0x3f7e222b, v89
	v_mul_f32_e32 v138, 0x3f116cb1, v65
	v_fma_f32 v140, 0xbf3f9e67, v71, -v105
	v_mul_f32_e32 v102, 0x3f7e222b, v102
	v_add_f32_e32 v116, v128, v116
	v_fmamk_f32 v128, v61, 0x3f116cb1, v131
	v_mul_f32_e32 v133, 0xbf6f5d39, v103
	v_add_f32_e32 v126, v134, v126
	v_fmamk_f32 v134, v87, 0x3f52af12, v138
	v_fmac_f32_e32 v138, 0xbf52af12, v87
	v_add_f32_e32 v140, v35, v140
	v_fma_f32 v141, 0x3df6dbef, v68, -v102
	v_mul_f32_e32 v142, 0xbf52af12, v101
	v_add_f32_e32 v116, v128, v116
	v_fmamk_f32 v128, v63, 0xbeb58ec6, v133
	v_mul_f32_e32 v139, 0x3f7e222b, v104
	v_mul_f32_e32 v101, 0xbf788fa5, v62
	v_add_f32_e32 v126, v138, v126
	v_add_f32_e32 v138, v141, v140
	v_fma_f32 v140, 0x3f116cb1, v64, -v142
	v_mul_f32_e32 v141, 0x3e750f2a, v100
	v_mul_f32_e32 v135, 0x3df6dbef, v69
	v_add_f32_e32 v116, v128, v116
	v_fmamk_f32 v143, v67, 0x3df6dbef, v139
	v_fmamk_f32 v144, v84, 0xbe750f2a, v101
	v_fmac_f32_e32 v101, 0x3e750f2a, v84
	v_mul_f32_e32 v145, 0x3f62ad3f, v66
	v_add_f32_e32 v100, v140, v138
	v_fma_f32 v138, 0xbf788fa5, v61, -v141
	v_fmamk_f32 v128, v86, 0xbf7e222b, v135
	v_mul_f32_e32 v140, 0x3eedf032, v103
	v_add_f32_e32 v103, v101, v126
	v_fmamk_f32 v126, v85, 0xbeedf032, v145
	v_fmac_f32_e32 v145, 0x3eedf032, v85
	v_add_f32_e32 v138, v138, v100
	v_add_f32_e32 v100, v143, v116
	v_mul_f32_e32 v116, 0xbeb58ec6, v69
	v_fma_f32 v146, 0x3f62ad3f, v63, -v140
	v_add_f32_e32 v101, v128, v124
	v_add_f32_e32 v103, v145, v103
	;; [unrolled: 1-line block ×3, first 2 shown]
	v_fmamk_f32 v105, v71, 0xbf3f9e67, v105
	v_fmamk_f32 v136, v86, 0x3f6f5d39, v116
	v_fmac_f32_e32 v116, 0xbf6f5d39, v86
	v_mul_f32_e32 v104, 0xbf6f5d39, v104
	v_add_f32_e32 v124, v146, v138
	v_add_f32_e32 v105, v35, v105
	v_fmamk_f32 v102, v68, 0x3df6dbef, v102
	v_add_f32_e32 v103, v116, v103
	v_fma_f32 v116, 0xbeb58ec6, v67, -v104
	v_fmac_f32_e32 v122, 0xbe750f2a, v90
	v_add_f32_e32 v128, v137, v128
	v_add_f32_e32 v105, v102, v105
	v_fmac_f32_e32 v125, 0x3eedf032, v89
	v_add_f32_e32 v102, v116, v124
	v_add_f32_e32 v116, v36, v122
	v_fma_f32 v123, 0xbf788fa5, v71, -v123
	v_add_f32_e32 v128, v134, v128
	v_fmamk_f32 v134, v64, 0x3f116cb1, v142
	v_fmac_f32_e32 v127, 0xbf29c268, v87
	v_add_f32_e32 v116, v125, v116
	v_add_f32_e32 v123, v35, v123
	v_fma_f32 v119, 0x3f62ad3f, v68, -v119
	v_add_f32_e32 v105, v134, v105
	v_fmamk_f32 v124, v61, 0xbf788fa5, v141
	v_add_f32_e32 v116, v127, v116
	v_fmac_f32_e32 v130, 0x3f52af12, v84
	v_fmac_f32_e32 v108, 0xbf6f5d39, v90
	v_add_f32_e32 v90, v119, v123
	v_fma_f32 v119, 0xbf3f9e67, v64, -v129
	v_add_f32_e32 v105, v124, v105
	v_fmamk_f32 v123, v63, 0x3f62ad3f, v140
	v_fmac_f32_e32 v109, 0x3f29c268, v89
	v_add_f32_e32 v89, v36, v108
	v_add_f32_e32 v108, v130, v116
	v_add_f32_e32 v90, v119, v90
	v_fmac_f32_e32 v132, 0xbf6f5d39, v85
	v_fma_f32 v116, 0x3f116cb1, v61, -v131
	v_add_f32_e32 v89, v109, v89
	v_fmac_f32_e32 v112, 0x3eedf032, v87
	v_add_f32_e32 v87, v123, v105
	v_add_f32_e32 v105, v132, v108
	;; [unrolled: 1-line block ×3, first 2 shown]
	v_fma_f32 v108, 0xbeb58ec6, v63, -v133
	v_mul_f32_e32 v109, 0x3df6dbef, v72
	v_fmac_f32_e32 v114, 0xbf7e222b, v84
	v_fma_f32 v84, 0xbeb58ec6, v71, -v110
	v_add_f32_e32 v19, v36, v19
	v_add_f32_e32 v90, v108, v90
	v_mul_f32_e32 v108, 0xbf788fa5, v70
	v_add_f32_e32 v99, v99, v109
	v_add_f32_e32 v84, v35, v84
	v_fma_f32 v109, 0xbf3f9e67, v68, -v111
	v_add_f32_e32 v18, v35, v18
	v_add_f32_e32 v98, v98, v108
	;; [unrolled: 1-line block ×3, first 2 shown]
	v_mul_f32_e32 v108, 0xbeb58ec6, v65
	v_fmac_f32_e32 v115, 0x3e750f2a, v85
	v_add_f32_e32 v84, v109, v84
	v_fma_f32 v85, 0x3f62ad3f, v64, -v113
	v_add_f32_e32 v98, v98, v99
	v_mul_f32_e32 v99, 0x3f62ad3f, v62
	v_add_f32_e32 v19, v19, v21
	v_add_f32_e32 v20, v18, v20
	;; [unrolled: 1-line block ×4, first 2 shown]
	v_mul_f32_e32 v85, 0x3f62ad3f, v71
	v_add_f32_e32 v96, v96, v99
	v_mul_f32_e32 v99, 0x3f116cb1, v71
	v_fma_f32 v108, 0x3df6dbef, v61, -v117
	v_mul_f32_e32 v71, 0x3df6dbef, v71
	v_fmac_f32_e32 v135, 0x3f7e222b, v86
	v_fmac_f32_e32 v120, 0x3f52af12, v86
	v_mul_f32_e32 v86, 0x3f116cb1, v66
	v_add_f32_e32 v15, v19, v15
	v_add_f32_e32 v14, v20, v14
	;; [unrolled: 1-line block ×3, first 2 shown]
	v_mul_f32_e32 v108, 0x3f116cb1, v68
	v_fma_f32 v109, 0xbf788fa5, v63, -v118
	v_add_f32_e32 v86, v95, v86
	v_mul_f32_e32 v95, 0xbeb58ec6, v68
	v_mul_f32_e32 v68, 0xbf788fa5, v68
	v_sub_f32_e32 v71, v71, v93
	v_add_f32_e32 v15, v15, v17
	v_add_f32_e32 v14, v14, v16
	v_add_f32_e32 v97, v97, v98
	v_mul_f32_e32 v98, 0x3f62ad3f, v72
	v_mul_f32_e32 v72, 0x3f116cb1, v72
	v_add_f32_e32 v84, v109, v84
	v_mul_f32_e32 v109, 0x3df6dbef, v64
	v_sub_f32_e32 v68, v68, v92
	v_mul_f32_e32 v92, 0xbf788fa5, v64
	v_add_f32_e32 v71, v35, v71
	v_mul_f32_e32 v64, 0xbeb58ec6, v64
	v_add_f32_e32 v15, v15, v27
	v_add_f32_e32 v14, v14, v26
	;; [unrolled: 1-line block ×3, first 2 shown]
	v_mul_f32_e32 v97, 0x3f116cb1, v70
	v_mul_f32_e32 v70, 0xbeb58ec6, v70
	;; [unrolled: 1-line block ×4, first 2 shown]
	v_add_f32_e32 v65, v68, v71
	v_sub_f32_e32 v64, v64, v91
	v_add_f32_e32 v72, v81, v72
	v_add_f32_e32 v20, v57, v98
	v_sub_f32_e32 v16, v85, v55
	v_add_f32_e32 v15, v15, v29
	v_add_f32_e32 v14, v14, v28
	;; [unrolled: 1-line block ×5, first 2 shown]
	v_sub_f32_e32 v76, v99, v76
	v_add_f32_e32 v86, v86, v96
	v_mul_f32_e32 v96, 0xbf3f9e67, v69
	v_add_f32_e32 v17, v36, v20
	v_add_f32_e32 v20, v56, v97
	;; [unrolled: 1-line block ×3, first 2 shown]
	v_sub_f32_e32 v26, v108, v54
	v_add_f32_e32 v15, v15, v23
	v_add_f32_e32 v14, v14, v22
	v_mul_f32_e32 v68, 0xbeb58ec6, v62
	v_mul_f32_e32 v62, 0xbf3f9e67, v62
	v_add_f32_e32 v72, v65, v72
	v_add_f32_e32 v77, v77, v110
	;; [unrolled: 1-line block ×3, first 2 shown]
	v_sub_f32_e32 v73, v95, v73
	v_add_f32_e32 v94, v94, v96
	v_mul_f32_e32 v96, 0xbeb58ec6, v61
	v_add_f32_e32 v17, v20, v17
	v_add_f32_e32 v20, v53, v93
	v_add_f32_e32 v16, v26, v16
	v_sub_f32_e32 v26, v109, v52
	v_add_f32_e32 v15, v15, v25
	v_add_f32_e32 v14, v14, v24
	;; [unrolled: 1-line block ×3, first 2 shown]
	v_mul_f32_e32 v71, 0xbf3f9e67, v61
	v_mul_f32_e32 v61, 0x3f62ad3f, v61
	v_add_f32_e32 v72, v77, v72
	v_add_f32_e32 v62, v78, v62
	;; [unrolled: 1-line block ×3, first 2 shown]
	v_sub_f32_e32 v74, v92, v74
	v_mul_f32_e32 v81, 0xbf3f9e67, v63
	v_mul_f32_e32 v91, 0xbf3f9e67, v66
	v_add_f32_e32 v17, v20, v17
	v_add_f32_e32 v20, v51, v68
	;; [unrolled: 1-line block ×3, first 2 shown]
	v_sub_f32_e32 v22, v96, v49
	v_add_f32_e32 v11, v15, v11
	v_add_f32_e32 v10, v14, v10
	;; [unrolled: 1-line block ×3, first 2 shown]
	v_mul_f32_e32 v70, 0x3df6dbef, v63
	v_mul_f32_e32 v66, 0x3df6dbef, v66
	;; [unrolled: 1-line block ×3, first 2 shown]
	v_sub_f32_e32 v88, v61, v88
	v_mul_f32_e32 v112, 0xbf788fa5, v69
	v_mul_f32_e32 v69, 0x3f62ad3f, v69
	v_add_f32_e32 v62, v62, v72
	v_add_f32_e32 v72, v74, v73
	v_sub_f32_e32 v71, v71, v75
	v_mul_f32_e32 v111, 0xbf788fa5, v67
	v_add_f32_e32 v17, v20, v17
	v_add_f32_e32 v20, v50, v91
	;; [unrolled: 1-line block ×3, first 2 shown]
	v_sub_f32_e32 v15, v81, v48
	v_add_f32_e32 v11, v11, v13
	v_add_f32_e32 v10, v10, v12
	v_add_f32_e32 v89, v115, v89
	v_mul_f32_e32 v99, 0x3f62ad3f, v67
	v_mul_f32_e32 v115, 0xbf3f9e67, v67
	v_add_f32_e32 v64, v88, v64
	v_sub_f32_e32 v80, v80, v83
	v_add_f32_e32 v66, v79, v66
	v_add_f32_e32 v60, v60, v69
	;; [unrolled: 1-line block ×3, first 2 shown]
	v_sub_f32_e32 v21, v70, v59
	v_add_f32_e32 v122, v144, v128
	v_add_f32_e32 v16, v20, v17
	;; [unrolled: 1-line block ×4, first 2 shown]
	v_sub_f32_e32 v14, v111, v46
	v_add_f32_e32 v11, v11, v7
	v_add_f32_e32 v10, v10, v6
	v_mul_u32_u24_e32 v15, 0x60, v34
	v_add_f32_e32 v64, v80, v64
	v_sub_f32_e32 v76, v115, v82
	v_add_f32_e32 v62, v66, v62
	v_add_f32_e32 v19, v21, v69
	v_sub_f32_e32 v21, v99, v58
	v_fma_f32 v114, 0x3f116cb1, v67, -v121
	v_fma_f32 v113, 0x3df6dbef, v67, -v139
	v_add_f32_e32 v122, v126, v122
	v_fmamk_f32 v104, v67, 0xbeb58ec6, v104
	v_add_f32_e32 v7, v12, v16
	v_add_f32_e32 v6, v14, v13
	;; [unrolled: 1-line block ×4, first 2 shown]
	v_add3_u32 v10, v45, v15, v40
	v_add_f32_e32 v67, v94, v86
	v_add_f32_e32 v66, v76, v64
	;; [unrolled: 1-line block ×10, first 2 shown]
	ds_write2_b64 v10, v[8:9], v[6:7] offset1:1
	ds_write2_b64 v10, v[17:18], v[66:67] offset0:2 offset1:3
	ds_write2_b64 v10, v[64:65], v[102:103] offset0:4 offset1:5
	;; [unrolled: 1-line block ×5, first 2 shown]
	ds_write_b64 v10, v[4:5] offset:96
.LBB0_21:
	s_or_b32 exec_lo, exec_lo, s1
	v_and_b32_e32 v6, 0xff, v34
	v_add_nc_u32_e32 v28, 0x5b, v34
	v_add_nc_u32_e32 v8, 0x16c, v34
	v_mov_b32_e32 v9, 0x4ec5
	v_add_nc_u32_e32 v7, 0xb6, v34
	v_mul_lo_u16 v36, 0x4f, v6
	v_and_b32_e32 v10, 0xff, v28
	v_add_nc_u32_e32 v6, 0x111, v34
	v_mul_u32_u24_sdwa v11, v8, v9 dst_sel:DWORD dst_unused:UNUSED_PAD src0_sel:WORD_0 src1_sel:DWORD
	v_mov_b32_e32 v35, 3
	v_lshrrev_b16 v15, 10, v36
	v_mul_lo_u16 v29, 0x4f, v10
	s_waitcnt lgkmcnt(0)
	v_lshrrev_b32_e32 v27, 18, v11
	v_mul_u32_u24_sdwa v11, v7, v9 dst_sel:DWORD dst_unused:UNUSED_PAD src0_sel:WORD_0 src1_sel:DWORD
	v_mul_lo_u16 v10, v15, 13
	v_mul_u32_u24_sdwa v9, v6, v9 dst_sel:DWORD dst_unused:UNUSED_PAD src0_sel:WORD_0 src1_sel:DWORD
	v_lshrrev_b16 v55, 10, v29
	v_mul_lo_u16 v12, v27, 13
	v_lshrrev_b32_e32 v56, 18, v11
	v_sub_nc_u16 v10, v34, v10
	v_lshrrev_b32_e32 v57, 18, v9
	v_mul_lo_u16 v9, v55, 13
	v_sub_nc_u16 v8, v8, v12
	v_mul_lo_u16 v11, v56, 13
	v_lshlrev_b32_sdwa v58, v35, v10 dst_sel:DWORD dst_unused:UNUSED_PAD src0_sel:DWORD src1_sel:BYTE_0
	v_mul_lo_u16 v10, v57, 13
	v_sub_nc_u16 v9, v28, v9
	s_barrier
	v_sub_nc_u16 v7, v7, v11
	buffer_gl0_inv
	v_sub_nc_u16 v6, v6, v10
	v_lshlrev_b32_sdwa v59, v35, v8 dst_sel:DWORD dst_unused:UNUSED_PAD src0_sel:DWORD src1_sel:WORD_0
	global_load_dwordx2 v[23:24], v58, s[12:13]
	v_lshlrev_b32_sdwa v60, v35, v9 dst_sel:DWORD dst_unused:UNUSED_PAD src0_sel:DWORD src1_sel:BYTE_0
	v_lshlrev_b32_sdwa v61, v35, v7 dst_sel:DWORD dst_unused:UNUSED_PAD src0_sel:DWORD src1_sel:WORD_0
	v_lshlrev_b32_sdwa v62, v35, v6 dst_sel:DWORD dst_unused:UNUSED_PAD src0_sel:DWORD src1_sel:WORD_0
	s_clause 0x3
	global_load_dwordx2 v[25:26], v59, s[12:13]
	global_load_dwordx2 v[45:46], v60, s[12:13]
	;; [unrolled: 1-line block ×4, first 2 shown]
	ds_read2_b64 v[7:10], v42 offset0:71 offset1:162
	ds_read2_b64 v[11:14], v38 offset0:91 offset1:182
	ds_read_b64 v[51:52], v39
	ds_read_b64 v[53:54], v38 offset:6552
	v_and_b32_e32 v63, 0xffff, v15
	ds_read2_b64 v[15:18], v43 offset0:125 offset1:216
	ds_read2_b64 v[19:22], v44 offset0:17 offset1:108
	v_and_b32_e32 v43, 0xffff, v55
	v_mad_u32_u24 v27, 0xd0, v27, 0
	v_mad_u32_u24 v55, 0xd0, v56, 0
	;; [unrolled: 1-line block ×5, first 2 shown]
	v_add_nc_u32_e32 v6, 0x1400, v38
	v_add3_u32 v55, v55, v61, v40
	v_add3_u32 v57, v44, v58, v40
	;; [unrolled: 1-line block ×5, first 2 shown]
	s_waitcnt vmcnt(0) lgkmcnt(0)
	s_barrier
	buffer_gl0_inv
	v_cmp_gt_u32_e64 s0, 39, v34
	v_mul_f32_e32 v27, v24, v8
	v_mul_f32_e32 v24, v24, v7
	;; [unrolled: 1-line block ×4, first 2 shown]
	v_fma_f32 v7, v23, v7, -v27
	v_fmac_f32_e32 v24, v23, v8
	v_mul_f32_e32 v8, v46, v10
	v_mul_f32_e32 v23, v46, v9
	;; [unrolled: 1-line block ×6, first 2 shown]
	v_fmac_f32_e32 v26, v25, v54
	v_fma_f32 v8, v45, v9, -v8
	v_fmac_f32_e32 v23, v45, v10
	v_fma_f32 v43, v25, v53, -v43
	v_fma_f32 v9, v47, v15, -v27
	v_fmac_f32_e32 v44, v47, v16
	v_fma_f32 v10, v49, v17, -v46
	v_fmac_f32_e32 v48, v49, v18
	v_sub_f32_e32 v15, v51, v7
	v_sub_f32_e32 v16, v52, v24
	;; [unrolled: 1-line block ×10, first 2 shown]
	v_fma_f32 v17, v51, 2.0, -v15
	v_fma_f32 v18, v52, 2.0, -v16
	;; [unrolled: 1-line block ×10, first 2 shown]
	ds_write2_b64 v57, v[17:18], v[15:16] offset1:13
	ds_write2_b64 v59, v[45:46], v[26:27] offset1:13
	;; [unrolled: 1-line block ×5, first 2 shown]
	s_waitcnt lgkmcnt(0)
	s_barrier
	buffer_gl0_inv
	ds_read_b64 v[26:27], v39
	ds_read2_b64 v[20:23], v41 offset0:2 offset1:132
	ds_read2_b64 v[16:19], v42 offset0:6 offset1:136
	;; [unrolled: 1-line block ×3, first 2 shown]
	s_and_saveexec_b32 s1, s0
	s_cbranch_execz .LBB0_23
; %bb.22:
	v_add_nc_u32_e32 v0, 0x800, v38
	v_add_nc_u32_e32 v1, 0xc00, v38
	ds_read2_b64 v[8:11], v38 offset0:91 offset1:221
	ds_read2_b32 v[24:25], v0 offset0:190 offset1:191
	ds_read2_b64 v[0:3], v1 offset0:97 offset1:227
	ds_read2_b64 v[4:7], v6 offset0:101 offset1:231
.LBB0_23:
	s_or_b32 exec_lo, exec_lo, s1
	v_lshrrev_b16 v53, 11, v36
	v_mov_b32_e32 v36, 6
	v_mul_lo_u16 v41, v53, 26
	v_and_b32_e32 v53, 0xffff, v53
	v_sub_nc_u16 v54, v34, v41
	v_mad_u32_u24 v53, 0x5b0, v53, 0
	v_mul_u32_u24_sdwa v41, v54, v36 dst_sel:DWORD dst_unused:UNUSED_PAD src0_sel:BYTE_0 src1_sel:DWORD
	v_lshlrev_b32_sdwa v35, v35, v54 dst_sel:DWORD dst_unused:UNUSED_PAD src0_sel:DWORD src1_sel:BYTE_0
	v_lshlrev_b32_e32 v49, 3, v41
	v_add3_u32 v35, v53, v35, v40
	s_clause 0x2
	global_load_dwordx4 v[41:44], v49, s[12:13] offset:104
	global_load_dwordx4 v[45:48], v49, s[12:13] offset:120
	;; [unrolled: 1-line block ×3, first 2 shown]
	s_waitcnt vmcnt(0) lgkmcnt(0)
	s_barrier
	buffer_gl0_inv
	v_mul_f32_e32 v53, v42, v21
	v_mul_f32_e32 v42, v42, v20
	;; [unrolled: 1-line block ×12, first 2 shown]
	v_fma_f32 v20, v41, v20, -v53
	v_fmac_f32_e32 v42, v41, v21
	v_fma_f32 v21, v43, v22, -v54
	v_fmac_f32_e32 v44, v43, v23
	;; [unrolled: 2-line block ×6, first 2 shown]
	v_add_f32_e32 v13, v20, v14
	v_add_f32_e32 v15, v42, v52
	v_sub_f32_e32 v14, v20, v14
	v_add_f32_e32 v19, v21, v12
	v_add_f32_e32 v20, v44, v50
	v_sub_f32_e32 v18, v42, v52
	v_sub_f32_e32 v12, v21, v12
	;; [unrolled: 1-line block ×3, first 2 shown]
	v_add_f32_e32 v22, v16, v17
	v_add_f32_e32 v23, v46, v48
	v_sub_f32_e32 v16, v17, v16
	v_sub_f32_e32 v17, v48, v46
	v_add_f32_e32 v41, v19, v13
	v_add_f32_e32 v42, v20, v15
	v_sub_f32_e32 v43, v19, v13
	v_sub_f32_e32 v44, v20, v15
	v_sub_f32_e32 v13, v13, v22
	v_sub_f32_e32 v15, v15, v23
	v_sub_f32_e32 v19, v22, v19
	v_sub_f32_e32 v20, v23, v20
	v_add_f32_e32 v45, v16, v12
	v_add_f32_e32 v46, v17, v21
	v_sub_f32_e32 v47, v16, v12
	v_sub_f32_e32 v48, v17, v21
	;; [unrolled: 1-line block ×4, first 2 shown]
	v_add_f32_e32 v22, v22, v41
	v_add_f32_e32 v23, v23, v42
	v_sub_f32_e32 v16, v14, v16
	v_sub_f32_e32 v17, v18, v17
	v_add_f32_e32 v14, v45, v14
	v_add_f32_e32 v18, v46, v18
	v_mul_f32_e32 v41, 0x3f4a47b2, v13
	v_mul_f32_e32 v15, 0x3f4a47b2, v15
	;; [unrolled: 1-line block ×8, first 2 shown]
	v_add_f32_e32 v12, v22, v26
	v_add_f32_e32 v13, v23, v27
	v_fmamk_f32 v19, v19, 0x3d64c772, v41
	v_fmamk_f32 v20, v20, 0x3d64c772, v15
	v_fma_f32 v26, 0x3f3bfb3b, v43, -v42
	v_fma_f32 v27, 0x3f3bfb3b, v44, -v45
	;; [unrolled: 1-line block ×4, first 2 shown]
	v_fmamk_f32 v42, v16, 0x3eae86e6, v46
	v_fmamk_f32 v43, v17, 0x3eae86e6, v47
	v_fma_f32 v44, 0x3f5ff5aa, v49, -v46
	v_fma_f32 v45, 0xbeae86e6, v16, -v48
	;; [unrolled: 1-line block ×3, first 2 shown]
	v_fmamk_f32 v16, v22, 0xbf955555, v12
	v_fmamk_f32 v17, v23, 0xbf955555, v13
	v_fma_f32 v21, 0x3f5ff5aa, v21, -v47
	v_fmac_f32_e32 v42, 0x3ee1c552, v14
	v_fmac_f32_e32 v43, 0x3ee1c552, v18
	v_add_f32_e32 v47, v19, v16
	v_add_f32_e32 v48, v20, v17
	v_fmac_f32_e32 v44, 0x3ee1c552, v14
	v_fmac_f32_e32 v21, 0x3ee1c552, v18
	;; [unrolled: 1-line block ×4, first 2 shown]
	v_add_f32_e32 v20, v26, v16
	v_add_f32_e32 v22, v41, v16
	;; [unrolled: 1-line block ×5, first 2 shown]
	v_sub_f32_e32 v15, v48, v42
	v_add_f32_e32 v16, v46, v22
	v_sub_f32_e32 v17, v23, v45
	v_sub_f32_e32 v18, v20, v21
	v_add_f32_e32 v19, v44, v26
	v_add_f32_e32 v20, v21, v20
	v_sub_f32_e32 v21, v26, v44
	v_sub_f32_e32 v22, v22, v46
	v_add_f32_e32 v23, v45, v23
	v_sub_f32_e32 v26, v47, v43
	v_add_f32_e32 v27, v42, v48
	ds_write2_b64 v35, v[12:13], v[14:15] offset1:26
	ds_write2_b64 v35, v[16:17], v[18:19] offset0:52 offset1:78
	ds_write2_b64 v35, v[20:21], v[22:23] offset0:104 offset1:130
	ds_write_b64 v35, v[26:27] offset:1248
	s_and_saveexec_b32 s1, s0
	s_cbranch_execz .LBB0_25
; %bb.24:
	v_lshrrev_b16 v26, 11, v29
	v_mov_b32_e32 v29, 3
	v_mul_lo_u16 v12, v26, 26
	v_and_b32_e32 v26, 0xffff, v26
	v_sub_nc_u16 v27, v28, v12
	v_mad_u32_u24 v26, 0x5b0, v26, 0
	v_mul_u32_u24_sdwa v12, v27, v36 dst_sel:DWORD dst_unused:UNUSED_PAD src0_sel:BYTE_0 src1_sel:DWORD
	v_lshlrev_b32_sdwa v27, v29, v27 dst_sel:DWORD dst_unused:UNUSED_PAD src0_sel:DWORD src1_sel:BYTE_0
	v_lshlrev_b32_e32 v20, 3, v12
	v_add3_u32 v26, v26, v27, v40
	s_clause 0x2
	global_load_dwordx4 v[12:15], v20, s[12:13] offset:104
	global_load_dwordx4 v[16:19], v20, s[12:13] offset:136
	;; [unrolled: 1-line block ×3, first 2 shown]
	s_waitcnt vmcnt(2)
	v_mul_f32_e32 v27, v11, v13
	s_waitcnt vmcnt(1)
	v_mul_f32_e32 v29, v7, v19
	;; [unrolled: 2-line block ×3, first 2 shown]
	v_mul_f32_e32 v36, v1, v21
	v_mul_f32_e32 v40, v25, v15
	;; [unrolled: 1-line block ×9, first 2 shown]
	v_fma_f32 v10, v10, v12, -v27
	v_fma_f32 v6, v6, v18, -v29
	;; [unrolled: 1-line block ×6, first 2 shown]
	v_fmac_f32_e32 v19, v7, v18
	v_fmac_f32_e32 v13, v11, v12
	;; [unrolled: 1-line block ×6, first 2 shown]
	v_sub_f32_e32 v1, v10, v6
	v_sub_f32_e32 v3, v2, v0
	v_add_f32_e32 v7, v13, v19
	v_add_f32_e32 v11, v21, v23
	v_add_f32_e32 v12, v15, v17
	v_add_f32_e32 v6, v10, v6
	v_add_f32_e32 v0, v0, v2
	v_add_f32_e32 v2, v24, v4
	v_sub_f32_e32 v5, v24, v4
	v_sub_f32_e32 v4, v13, v19
	v_sub_f32_e32 v10, v23, v21
	v_sub_f32_e32 v13, v15, v17
	v_sub_f32_e32 v16, v7, v11
	v_add_f32_e32 v18, v12, v7
	v_sub_f32_e32 v19, v6, v0
	v_add_f32_e32 v21, v2, v6
	v_sub_f32_e32 v14, v1, v3
	v_sub_f32_e32 v15, v3, v5
	v_add_f32_e32 v3, v3, v5
	v_sub_f32_e32 v17, v11, v12
	v_sub_f32_e32 v20, v0, v2
	;; [unrolled: 1-line block ×4, first 2 shown]
	v_add_f32_e32 v10, v10, v13
	v_sub_f32_e32 v2, v2, v6
	v_sub_f32_e32 v6, v13, v4
	v_mul_f32_e32 v13, 0x3f4a47b2, v16
	v_add_f32_e32 v11, v11, v18
	v_mul_f32_e32 v16, 0x3f4a47b2, v19
	v_add_f32_e32 v19, v0, v21
	v_sub_f32_e32 v5, v5, v1
	v_sub_f32_e32 v7, v12, v7
	v_mul_f32_e32 v12, 0xbf08b237, v15
	v_add_f32_e32 v3, v3, v1
	v_mul_f32_e32 v15, 0x3d64c772, v17
	v_mul_f32_e32 v21, 0xbf08b237, v23
	v_add_f32_e32 v1, v9, v11
	v_add_f32_e32 v0, v8, v19
	v_mul_f32_e32 v18, 0x3d64c772, v20
	v_add_f32_e32 v4, v10, v4
	v_mul_f32_e32 v10, 0x3f5ff5aa, v5
	v_mul_f32_e32 v23, 0x3f5ff5aa, v6
	v_fmamk_f32 v24, v14, 0x3eae86e6, v12
	v_fmamk_f32 v17, v17, 0x3d64c772, v13
	;; [unrolled: 1-line block ×4, first 2 shown]
	v_fma_f32 v8, 0xbf3bfb3b, v7, -v13
	v_fma_f32 v7, 0x3f3bfb3b, v7, -v15
	;; [unrolled: 1-line block ×3, first 2 shown]
	v_fmamk_f32 v5, v11, 0xbf955555, v1
	v_fmamk_f32 v11, v19, 0xbf955555, v0
	v_fma_f32 v10, 0xbeae86e6, v14, -v10
	v_fma_f32 v13, 0xbf3bfb3b, v2, -v16
	;; [unrolled: 1-line block ×5, first 2 shown]
	v_fmac_f32_e32 v24, 0x3ee1c552, v3
	v_fmac_f32_e32 v20, 0x3ee1c552, v4
	;; [unrolled: 1-line block ×3, first 2 shown]
	v_add_f32_e32 v15, v17, v5
	v_add_f32_e32 v16, v9, v11
	;; [unrolled: 1-line block ×4, first 2 shown]
	v_fmac_f32_e32 v10, 0x3ee1c552, v3
	v_fmac_f32_e32 v14, 0x3ee1c552, v4
	;; [unrolled: 1-line block ×3, first 2 shown]
	v_add_f32_e32 v18, v13, v11
	v_add_f32_e32 v2, v2, v11
	v_sub_f32_e32 v7, v8, v12
	v_add_f32_e32 v9, v12, v8
	v_sub_f32_e32 v13, v15, v24
	v_add_f32_e32 v12, v20, v16
	v_add_f32_e32 v5, v10, v17
	v_sub_f32_e32 v8, v2, v6
	v_sub_f32_e32 v11, v17, v10
	v_add_f32_e32 v10, v14, v18
	v_sub_f32_e32 v4, v18, v14
	v_add_f32_e32 v6, v6, v2
	v_add_f32_e32 v3, v24, v15
	v_sub_f32_e32 v2, v16, v20
	ds_write2_b64 v26, v[0:1], v[12:13] offset1:26
	ds_write2_b64 v26, v[10:11], v[8:9] offset0:52 offset1:78
	ds_write2_b64 v26, v[6:7], v[4:5] offset0:104 offset1:130
	ds_write_b64 v26, v[2:3] offset:1248
.LBB0_25:
	s_or_b32 exec_lo, exec_lo, s1
	v_lshlrev_b32_e32 v0, 2, v34
	v_mov_b32_e32 v1, 0
	s_waitcnt lgkmcnt(0)
	s_barrier
	buffer_gl0_inv
	v_add_nc_u32_e32 v26, 0xc00, v38
	v_lshlrev_b64 v[2:3], 3, v[0:1]
	v_lshlrev_b32_e32 v0, 2, v28
	v_add_nc_u32_e32 v46, 0x1000, v38
	v_add_nc_u32_e32 v47, 0x1200, v38
	v_lshlrev_b64 v[10:11], 3, v[0:1]
	v_add_co_u32 v6, s0, s12, v2
	v_add_co_ci_u32_e64 v7, s0, s13, v3, s0
	v_add_nc_u32_e32 v0, 0x800, v38
	v_add_co_u32 v14, s0, s12, v10
	s_clause 0x1
	global_load_dwordx4 v[2:5], v[6:7], off offset:1352
	global_load_dwordx4 v[6:9], v[6:7], off offset:1368
	v_add_co_ci_u32_e64 v15, s0, s13, v11, s0
	s_clause 0x1
	global_load_dwordx4 v[10:13], v[14:15], off offset:1352
	global_load_dwordx4 v[14:17], v[14:15], off offset:1368
	ds_read2_b64 v[18:21], v38 offset0:91 offset1:182
	ds_read2_b64 v[22:25], v0 offset0:17 offset1:108
	;; [unrolled: 1-line block ×4, first 2 shown]
	ds_read_b64 v[35:36], v39
	ds_read_b64 v[44:45], v38 offset:6552
	v_add_nc_u32_e32 v39, 0x400, v38
	s_waitcnt vmcnt(0) lgkmcnt(0)
	s_barrier
	buffer_gl0_inv
	v_mul_f32_e32 v48, v3, v21
	v_mul_f32_e32 v3, v3, v20
	;; [unrolled: 1-line block ×8, first 2 shown]
	v_fma_f32 v9, v2, v20, -v48
	v_fmac_f32_e32 v3, v2, v21
	v_fma_f32 v2, v4, v24, -v49
	v_fmac_f32_e32 v5, v4, v25
	;; [unrolled: 2-line block ×4, first 2 shown]
	v_mul_f32_e32 v6, v11, v23
	v_mul_f32_e32 v8, v11, v22
	v_mul_f32_e32 v11, v27, v13
	v_mul_f32_e32 v13, v26, v13
	v_mul_f32_e32 v21, v41, v15
	v_mul_f32_e32 v15, v40, v15
	v_mul_f32_e32 v24, v45, v17
	v_mul_f32_e32 v17, v44, v17
	v_fma_f32 v6, v10, v22, -v6
	v_fmac_f32_e32 v8, v10, v23
	v_fma_f32 v10, v26, v12, -v11
	v_fmac_f32_e32 v13, v27, v12
	;; [unrolled: 2-line block ×4, first 2 shown]
	v_add_f32_e32 v11, v35, v9
	v_add_f32_e32 v14, v2, v4
	v_sub_f32_e32 v23, v9, v2
	v_add_f32_e32 v25, v9, v20
	v_sub_f32_e32 v26, v2, v9
	;; [unrolled: 2-line block ×3, first 2 shown]
	v_sub_f32_e32 v9, v3, v5
	v_sub_f32_e32 v42, v52, v7
	v_add_f32_e32 v43, v3, v52
	v_add_f32_e32 v28, v36, v3
	v_sub_f32_e32 v16, v3, v52
	v_sub_f32_e32 v22, v5, v7
	;; [unrolled: 1-line block ×7, first 2 shown]
	v_add_f32_e32 v11, v11, v2
	v_fma_f32 v2, -0.5, v14, v35
	v_fma_f32 v35, -0.5, v25, v35
	;; [unrolled: 1-line block ×3, first 2 shown]
	v_add_f32_e32 v25, v9, v42
	v_fmac_f32_e32 v36, -0.5, v43
	v_add_f32_e32 v9, v18, v6
	v_add_f32_e32 v14, v10, v12
	;; [unrolled: 1-line block ×10, first 2 shown]
	v_sub_f32_e32 v27, v8, v17
	v_sub_f32_e32 v28, v13, v15
	;; [unrolled: 1-line block ×8, first 2 shown]
	v_add_f32_e32 v11, v11, v4
	v_fmamk_f32 v6, v22, 0xbf737871, v35
	v_fmac_f32_e32 v35, 0x3f737871, v22
	v_add_f32_e32 v59, v9, v10
	v_fma_f32 v8, -0.5, v14, v18
	v_fma_f32 v18, -0.5, v43, v18
	v_add_f32_e32 v13, v48, v13
	v_fma_f32 v9, -0.5, v49, v19
	v_fmac_f32_e32 v19, -0.5, v55
	v_fmamk_f32 v4, v16, 0x3f737871, v2
	v_add_f32_e32 v58, v5, v7
	v_fmamk_f32 v5, v40, 0xbf737871, v3
	v_fmamk_f32 v7, v41, 0x3f737871, v36
	v_fmac_f32_e32 v2, 0xbf737871, v16
	v_fmac_f32_e32 v3, 0x3f737871, v40
	v_fmac_f32_e32 v36, 0xbf737871, v41
	v_sub_f32_e32 v42, v21, v12
	v_sub_f32_e32 v45, v12, v21
	;; [unrolled: 1-line block ×4, first 2 shown]
	v_add_f32_e32 v10, v11, v20
	v_fmac_f32_e32 v6, 0x3f167918, v16
	v_fmac_f32_e32 v35, 0xbf167918, v16
	v_add_f32_e32 v16, v59, v12
	v_fmamk_f32 v12, v27, 0x3f737871, v8
	v_fmamk_f32 v14, v28, 0xbf737871, v18
	v_add_f32_e32 v20, v13, v15
	v_fmamk_f32 v13, v50, 0xbf737871, v9
	v_fmamk_f32 v15, v51, 0x3f737871, v19
	v_fmac_f32_e32 v8, 0xbf737871, v27
	v_fmac_f32_e32 v18, 0x3f737871, v28
	;; [unrolled: 1-line block ×10, first 2 shown]
	v_add_f32_e32 v29, v29, v42
	v_add_f32_e32 v42, v44, v45
	;; [unrolled: 1-line block ×4, first 2 shown]
	v_fmac_f32_e32 v12, 0x3f167918, v28
	v_fmac_f32_e32 v14, 0x3f167918, v27
	;; [unrolled: 1-line block ×16, first 2 shown]
	v_add_f32_e32 v11, v58, v52
	v_add_f32_e32 v16, v16, v21
	;; [unrolled: 1-line block ×3, first 2 shown]
	v_fmac_f32_e32 v12, 0x3e9e377a, v29
	v_fmac_f32_e32 v14, 0x3e9e377a, v42
	;; [unrolled: 1-line block ×8, first 2 shown]
	ds_write2_b64 v39, v[4:5], v[6:7] offset0:54 offset1:236
	ds_write2_b64 v46, v[35:36], v[2:3] offset0:34 offset1:216
	ds_write2_b64 v38, v[10:11], v[16:17] offset1:91
	ds_write2_b64 v0, v[12:13], v[14:15] offset0:17 offset1:199
	ds_write2_b64 v47, v[18:19], v[8:9] offset0:61 offset1:243
	s_waitcnt lgkmcnt(0)
	s_barrier
	buffer_gl0_inv
	s_and_saveexec_b32 s0, vcc_lo
	s_cbranch_execz .LBB0_27
; %bb.26:
	v_mul_lo_u32 v0, s3, v32
	v_mul_lo_u32 v4, s2, v33
	v_mad_u64_u32 v[2:3], null, s2, v32, 0
	v_lshl_add_u32 v18, v34, 3, v37
	v_mov_b32_e32 v35, v1
	v_lshlrev_b64 v[8:9], 3, v[30:31]
	v_add_nc_u32_e32 v14, 0x400, v18
	v_add3_u32 v3, v3, v4, v0
	v_add_nc_u32_e32 v0, 0x5b, v34
	v_lshlrev_b64 v[10:11], 3, v[34:35]
	v_add_nc_u32_e32 v15, 0x800, v18
	v_lshlrev_b64 v[6:7], 3, v[2:3]
	ds_read2_b64 v[2:5], v18 offset1:91
	v_lshlrev_b64 v[12:13], 3, v[0:1]
	v_add_nc_u32_e32 v0, 0xb6, v34
	v_add_co_u32 v6, vcc_lo, s10, v6
	v_add_co_ci_u32_e32 v7, vcc_lo, s11, v7, vcc_lo
	v_add_co_u32 v20, vcc_lo, v6, v8
	v_add_co_ci_u32_e32 v21, vcc_lo, v7, v9, vcc_lo
	v_add_co_u32 v6, vcc_lo, v20, v10
	v_add_co_ci_u32_e32 v7, vcc_lo, v21, v11, vcc_lo
	v_add_co_u32 v8, vcc_lo, v20, v12
	v_add_co_ci_u32_e32 v9, vcc_lo, v21, v13, vcc_lo
	v_lshlrev_b64 v[10:11], 3, v[0:1]
	v_add_nc_u32_e32 v0, 0x111, v34
	s_waitcnt lgkmcnt(0)
	global_store_dwordx2 v[6:7], v[2:3], off
	global_store_dwordx2 v[8:9], v[4:5], off
	ds_read2_b64 v[2:5], v14 offset0:54 offset1:145
	ds_read2_b64 v[6:9], v15 offset0:108 offset1:199
	v_lshlrev_b64 v[12:13], 3, v[0:1]
	v_add_nc_u32_e32 v0, 0x16c, v34
	v_add_co_u32 v10, vcc_lo, v20, v10
	v_add_co_ci_u32_e32 v11, vcc_lo, v21, v11, vcc_lo
	v_lshlrev_b64 v[14:15], 3, v[0:1]
	v_add_nc_u32_e32 v0, 0x1c7, v34
	v_add_co_u32 v12, vcc_lo, v20, v12
	v_add_co_ci_u32_e32 v13, vcc_lo, v21, v13, vcc_lo
	v_add_co_u32 v14, vcc_lo, v20, v14
	v_lshlrev_b64 v[16:17], 3, v[0:1]
	v_add_nc_u32_e32 v0, 0x222, v34
	v_add_co_ci_u32_e32 v15, vcc_lo, v21, v15, vcc_lo
	s_waitcnt lgkmcnt(1)
	global_store_dwordx2 v[10:11], v[2:3], off
	global_store_dwordx2 v[12:13], v[4:5], off
	s_waitcnt lgkmcnt(0)
	global_store_dwordx2 v[14:15], v[6:7], off
	v_add_nc_u32_e32 v2, 0x1000, v18
	v_lshlrev_b64 v[6:7], 3, v[0:1]
	v_add_nc_u32_e32 v0, 0x27d, v34
	v_add_nc_u32_e32 v10, 0x1400, v18
	v_add_co_u32 v14, vcc_lo, v20, v16
	v_add_co_ci_u32_e32 v15, vcc_lo, v21, v17, vcc_lo
	ds_read2_b64 v[2:5], v2 offset0:34 offset1:125
	v_lshlrev_b64 v[16:17], 3, v[0:1]
	v_add_nc_u32_e32 v0, 0x2d8, v34
	ds_read2_b64 v[10:13], v10 offset0:88 offset1:179
	v_add_co_u32 v6, vcc_lo, v20, v6
	v_add_co_ci_u32_e32 v7, vcc_lo, v21, v7, vcc_lo
	v_lshlrev_b64 v[18:19], 3, v[0:1]
	v_add_nc_u32_e32 v0, 0x333, v34
	v_add_co_u32 v16, vcc_lo, v20, v16
	v_add_co_ci_u32_e32 v17, vcc_lo, v21, v17, vcc_lo
	v_lshlrev_b64 v[0:1], 3, v[0:1]
	v_add_co_u32 v18, vcc_lo, v20, v18
	v_add_co_ci_u32_e32 v19, vcc_lo, v21, v19, vcc_lo
	v_add_co_u32 v0, vcc_lo, v20, v0
	v_add_co_ci_u32_e32 v1, vcc_lo, v21, v1, vcc_lo
	global_store_dwordx2 v[14:15], v[8:9], off
	s_waitcnt lgkmcnt(1)
	global_store_dwordx2 v[6:7], v[2:3], off
	global_store_dwordx2 v[16:17], v[4:5], off
	s_waitcnt lgkmcnt(0)
	global_store_dwordx2 v[18:19], v[10:11], off
	global_store_dwordx2 v[0:1], v[12:13], off
.LBB0_27:
	s_endpgm
	.section	.rodata,"a",@progbits
	.p2align	6, 0x0
	.amdhsa_kernel fft_rtc_fwd_len910_factors_13_2_7_5_wgs_182_tpt_91_sp_op_CI_CI_unitstride_sbrr_C2R_dirReg
		.amdhsa_group_segment_fixed_size 0
		.amdhsa_private_segment_fixed_size 0
		.amdhsa_kernarg_size 104
		.amdhsa_user_sgpr_count 6
		.amdhsa_user_sgpr_private_segment_buffer 1
		.amdhsa_user_sgpr_dispatch_ptr 0
		.amdhsa_user_sgpr_queue_ptr 0
		.amdhsa_user_sgpr_kernarg_segment_ptr 1
		.amdhsa_user_sgpr_dispatch_id 0
		.amdhsa_user_sgpr_flat_scratch_init 0
		.amdhsa_user_sgpr_private_segment_size 0
		.amdhsa_wavefront_size32 1
		.amdhsa_uses_dynamic_stack 0
		.amdhsa_system_sgpr_private_segment_wavefront_offset 0
		.amdhsa_system_sgpr_workgroup_id_x 1
		.amdhsa_system_sgpr_workgroup_id_y 0
		.amdhsa_system_sgpr_workgroup_id_z 0
		.amdhsa_system_sgpr_workgroup_info 0
		.amdhsa_system_vgpr_workitem_id 0
		.amdhsa_next_free_vgpr 147
		.amdhsa_next_free_sgpr 27
		.amdhsa_reserve_vcc 1
		.amdhsa_reserve_flat_scratch 0
		.amdhsa_float_round_mode_32 0
		.amdhsa_float_round_mode_16_64 0
		.amdhsa_float_denorm_mode_32 3
		.amdhsa_float_denorm_mode_16_64 3
		.amdhsa_dx10_clamp 1
		.amdhsa_ieee_mode 1
		.amdhsa_fp16_overflow 0
		.amdhsa_workgroup_processor_mode 1
		.amdhsa_memory_ordered 1
		.amdhsa_forward_progress 0
		.amdhsa_shared_vgpr_count 0
		.amdhsa_exception_fp_ieee_invalid_op 0
		.amdhsa_exception_fp_denorm_src 0
		.amdhsa_exception_fp_ieee_div_zero 0
		.amdhsa_exception_fp_ieee_overflow 0
		.amdhsa_exception_fp_ieee_underflow 0
		.amdhsa_exception_fp_ieee_inexact 0
		.amdhsa_exception_int_div_zero 0
	.end_amdhsa_kernel
	.text
.Lfunc_end0:
	.size	fft_rtc_fwd_len910_factors_13_2_7_5_wgs_182_tpt_91_sp_op_CI_CI_unitstride_sbrr_C2R_dirReg, .Lfunc_end0-fft_rtc_fwd_len910_factors_13_2_7_5_wgs_182_tpt_91_sp_op_CI_CI_unitstride_sbrr_C2R_dirReg
                                        ; -- End function
	.section	.AMDGPU.csdata,"",@progbits
; Kernel info:
; codeLenInByte = 9520
; NumSgprs: 29
; NumVgprs: 147
; ScratchSize: 0
; MemoryBound: 0
; FloatMode: 240
; IeeeMode: 1
; LDSByteSize: 0 bytes/workgroup (compile time only)
; SGPRBlocks: 3
; VGPRBlocks: 18
; NumSGPRsForWavesPerEU: 29
; NumVGPRsForWavesPerEU: 147
; Occupancy: 6
; WaveLimiterHint : 1
; COMPUTE_PGM_RSRC2:SCRATCH_EN: 0
; COMPUTE_PGM_RSRC2:USER_SGPR: 6
; COMPUTE_PGM_RSRC2:TRAP_HANDLER: 0
; COMPUTE_PGM_RSRC2:TGID_X_EN: 1
; COMPUTE_PGM_RSRC2:TGID_Y_EN: 0
; COMPUTE_PGM_RSRC2:TGID_Z_EN: 0
; COMPUTE_PGM_RSRC2:TIDIG_COMP_CNT: 0
	.text
	.p2alignl 6, 3214868480
	.fill 48, 4, 3214868480
	.type	__hip_cuid_a0b4e47634cf6279,@object ; @__hip_cuid_a0b4e47634cf6279
	.section	.bss,"aw",@nobits
	.globl	__hip_cuid_a0b4e47634cf6279
__hip_cuid_a0b4e47634cf6279:
	.byte	0                               ; 0x0
	.size	__hip_cuid_a0b4e47634cf6279, 1

	.ident	"AMD clang version 19.0.0git (https://github.com/RadeonOpenCompute/llvm-project roc-6.4.0 25133 c7fe45cf4b819c5991fe208aaa96edf142730f1d)"
	.section	".note.GNU-stack","",@progbits
	.addrsig
	.addrsig_sym __hip_cuid_a0b4e47634cf6279
	.amdgpu_metadata
---
amdhsa.kernels:
  - .args:
      - .actual_access:  read_only
        .address_space:  global
        .offset:         0
        .size:           8
        .value_kind:     global_buffer
      - .offset:         8
        .size:           8
        .value_kind:     by_value
      - .actual_access:  read_only
        .address_space:  global
        .offset:         16
        .size:           8
        .value_kind:     global_buffer
      - .actual_access:  read_only
        .address_space:  global
        .offset:         24
        .size:           8
        .value_kind:     global_buffer
      - .actual_access:  read_only
        .address_space:  global
        .offset:         32
        .size:           8
        .value_kind:     global_buffer
      - .offset:         40
        .size:           8
        .value_kind:     by_value
      - .actual_access:  read_only
        .address_space:  global
        .offset:         48
        .size:           8
        .value_kind:     global_buffer
      - .actual_access:  read_only
        .address_space:  global
        .offset:         56
        .size:           8
        .value_kind:     global_buffer
      - .offset:         64
        .size:           4
        .value_kind:     by_value
      - .actual_access:  read_only
        .address_space:  global
        .offset:         72
        .size:           8
        .value_kind:     global_buffer
      - .actual_access:  read_only
        .address_space:  global
        .offset:         80
        .size:           8
        .value_kind:     global_buffer
      - .actual_access:  read_only
        .address_space:  global
        .offset:         88
        .size:           8
        .value_kind:     global_buffer
      - .actual_access:  write_only
        .address_space:  global
        .offset:         96
        .size:           8
        .value_kind:     global_buffer
    .group_segment_fixed_size: 0
    .kernarg_segment_align: 8
    .kernarg_segment_size: 104
    .language:       OpenCL C
    .language_version:
      - 2
      - 0
    .max_flat_workgroup_size: 182
    .name:           fft_rtc_fwd_len910_factors_13_2_7_5_wgs_182_tpt_91_sp_op_CI_CI_unitstride_sbrr_C2R_dirReg
    .private_segment_fixed_size: 0
    .sgpr_count:     29
    .sgpr_spill_count: 0
    .symbol:         fft_rtc_fwd_len910_factors_13_2_7_5_wgs_182_tpt_91_sp_op_CI_CI_unitstride_sbrr_C2R_dirReg.kd
    .uniform_work_group_size: 1
    .uses_dynamic_stack: false
    .vgpr_count:     147
    .vgpr_spill_count: 0
    .wavefront_size: 32
    .workgroup_processor_mode: 1
amdhsa.target:   amdgcn-amd-amdhsa--gfx1030
amdhsa.version:
  - 1
  - 2
...

	.end_amdgpu_metadata
